;; amdgpu-corpus repo=ROCm/rocFFT kind=compiled arch=gfx1030 opt=O3
	.text
	.amdgcn_target "amdgcn-amd-amdhsa--gfx1030"
	.amdhsa_code_object_version 6
	.protected	fft_rtc_back_len176_factors_11_16_wgs_64_tpt_16_halfLds_half_op_CI_CI_unitstride_sbrr_C2R_dirReg ; -- Begin function fft_rtc_back_len176_factors_11_16_wgs_64_tpt_16_halfLds_half_op_CI_CI_unitstride_sbrr_C2R_dirReg
	.globl	fft_rtc_back_len176_factors_11_16_wgs_64_tpt_16_halfLds_half_op_CI_CI_unitstride_sbrr_C2R_dirReg
	.p2align	8
	.type	fft_rtc_back_len176_factors_11_16_wgs_64_tpt_16_halfLds_half_op_CI_CI_unitstride_sbrr_C2R_dirReg,@function
fft_rtc_back_len176_factors_11_16_wgs_64_tpt_16_halfLds_half_op_CI_CI_unitstride_sbrr_C2R_dirReg: ; @fft_rtc_back_len176_factors_11_16_wgs_64_tpt_16_halfLds_half_op_CI_CI_unitstride_sbrr_C2R_dirReg
; %bb.0:
	s_clause 0x2
	s_load_dwordx4 s[12:15], s[4:5], 0x0
	s_load_dwordx4 s[8:11], s[4:5], 0x58
	;; [unrolled: 1-line block ×3, first 2 shown]
	v_lshrrev_b32_e32 v11, 4, v0
	v_mov_b32_e32 v3, 0
	v_mov_b32_e32 v7, 0
	;; [unrolled: 1-line block ×3, first 2 shown]
	v_lshl_or_b32 v9, s6, 2, v11
	v_mov_b32_e32 v10, v3
	s_waitcnt lgkmcnt(0)
	v_cmp_lt_u64_e64 s0, s[14:15], 2
	s_and_b32 vcc_lo, exec_lo, s0
	s_cbranch_vccnz .LBB0_8
; %bb.1:
	s_load_dwordx2 s[0:1], s[4:5], 0x10
	v_mov_b32_e32 v7, 0
	v_mov_b32_e32 v8, 0
	s_add_u32 s2, s18, 8
	s_addc_u32 s3, s19, 0
	v_mov_b32_e32 v1, v7
	s_add_u32 s6, s16, 8
	v_mov_b32_e32 v2, v8
	s_addc_u32 s7, s17, 0
	s_mov_b64 s[22:23], 1
	s_waitcnt lgkmcnt(0)
	s_add_u32 s20, s0, 8
	s_addc_u32 s21, s1, 0
.LBB0_2:                                ; =>This Inner Loop Header: Depth=1
	s_load_dwordx2 s[24:25], s[20:21], 0x0
                                        ; implicit-def: $vgpr5_vgpr6
	s_mov_b32 s0, exec_lo
	s_waitcnt lgkmcnt(0)
	v_or_b32_e32 v4, s25, v10
	v_cmpx_ne_u64_e32 0, v[3:4]
	s_xor_b32 s1, exec_lo, s0
	s_cbranch_execz .LBB0_4
; %bb.3:                                ;   in Loop: Header=BB0_2 Depth=1
	v_cvt_f32_u32_e32 v4, s24
	v_cvt_f32_u32_e32 v5, s25
	s_sub_u32 s0, 0, s24
	s_subb_u32 s26, 0, s25
	v_fmac_f32_e32 v4, 0x4f800000, v5
	v_rcp_f32_e32 v4, v4
	v_mul_f32_e32 v4, 0x5f7ffffc, v4
	v_mul_f32_e32 v5, 0x2f800000, v4
	v_trunc_f32_e32 v5, v5
	v_fmac_f32_e32 v4, 0xcf800000, v5
	v_cvt_u32_f32_e32 v5, v5
	v_cvt_u32_f32_e32 v4, v4
	v_mul_lo_u32 v6, s0, v5
	v_mul_hi_u32 v12, s0, v4
	v_mul_lo_u32 v13, s26, v4
	v_add_nc_u32_e32 v6, v12, v6
	v_mul_lo_u32 v12, s0, v4
	v_add_nc_u32_e32 v6, v6, v13
	v_mul_hi_u32 v13, v4, v12
	v_mul_lo_u32 v14, v4, v6
	v_mul_hi_u32 v15, v4, v6
	v_mul_hi_u32 v16, v5, v12
	v_mul_lo_u32 v12, v5, v12
	v_mul_hi_u32 v17, v5, v6
	v_mul_lo_u32 v6, v5, v6
	v_add_co_u32 v13, vcc_lo, v13, v14
	v_add_co_ci_u32_e32 v14, vcc_lo, 0, v15, vcc_lo
	v_add_co_u32 v12, vcc_lo, v13, v12
	v_add_co_ci_u32_e32 v12, vcc_lo, v14, v16, vcc_lo
	v_add_co_ci_u32_e32 v13, vcc_lo, 0, v17, vcc_lo
	v_add_co_u32 v6, vcc_lo, v12, v6
	v_add_co_ci_u32_e32 v12, vcc_lo, 0, v13, vcc_lo
	v_add_co_u32 v4, vcc_lo, v4, v6
	v_add_co_ci_u32_e32 v5, vcc_lo, v5, v12, vcc_lo
	v_mul_hi_u32 v6, s0, v4
	v_mul_lo_u32 v13, s26, v4
	v_mul_lo_u32 v12, s0, v5
	v_add_nc_u32_e32 v6, v6, v12
	v_mul_lo_u32 v12, s0, v4
	v_add_nc_u32_e32 v6, v6, v13
	v_mul_hi_u32 v13, v4, v12
	v_mul_lo_u32 v14, v4, v6
	v_mul_hi_u32 v15, v4, v6
	v_mul_hi_u32 v16, v5, v12
	v_mul_lo_u32 v12, v5, v12
	v_mul_hi_u32 v17, v5, v6
	v_mul_lo_u32 v6, v5, v6
	v_add_co_u32 v13, vcc_lo, v13, v14
	v_add_co_ci_u32_e32 v14, vcc_lo, 0, v15, vcc_lo
	v_add_co_u32 v12, vcc_lo, v13, v12
	v_add_co_ci_u32_e32 v12, vcc_lo, v14, v16, vcc_lo
	v_add_co_ci_u32_e32 v13, vcc_lo, 0, v17, vcc_lo
	v_add_co_u32 v6, vcc_lo, v12, v6
	v_add_co_ci_u32_e32 v12, vcc_lo, 0, v13, vcc_lo
	v_add_co_u32 v6, vcc_lo, v4, v6
	v_add_co_ci_u32_e32 v14, vcc_lo, v5, v12, vcc_lo
	v_mul_hi_u32 v16, v9, v6
	v_mad_u64_u32 v[12:13], null, v10, v6, 0
	v_mad_u64_u32 v[4:5], null, v9, v14, 0
	;; [unrolled: 1-line block ×3, first 2 shown]
	v_add_co_u32 v4, vcc_lo, v16, v4
	v_add_co_ci_u32_e32 v5, vcc_lo, 0, v5, vcc_lo
	v_add_co_u32 v4, vcc_lo, v4, v12
	v_add_co_ci_u32_e32 v4, vcc_lo, v5, v13, vcc_lo
	v_add_co_ci_u32_e32 v5, vcc_lo, 0, v15, vcc_lo
	v_add_co_u32 v12, vcc_lo, v4, v14
	v_add_co_ci_u32_e32 v6, vcc_lo, 0, v5, vcc_lo
	v_mul_lo_u32 v13, s25, v12
	v_mad_u64_u32 v[4:5], null, s24, v12, 0
	v_mul_lo_u32 v14, s24, v6
	v_sub_co_u32 v4, vcc_lo, v9, v4
	v_add3_u32 v5, v5, v14, v13
	v_sub_nc_u32_e32 v13, v10, v5
	v_subrev_co_ci_u32_e64 v13, s0, s25, v13, vcc_lo
	v_add_co_u32 v14, s0, v12, 2
	v_add_co_ci_u32_e64 v15, s0, 0, v6, s0
	v_sub_co_u32 v16, s0, v4, s24
	v_sub_co_ci_u32_e32 v5, vcc_lo, v10, v5, vcc_lo
	v_subrev_co_ci_u32_e64 v13, s0, 0, v13, s0
	v_cmp_le_u32_e32 vcc_lo, s24, v16
	v_cmp_eq_u32_e64 s0, s25, v5
	v_cndmask_b32_e64 v16, 0, -1, vcc_lo
	v_cmp_le_u32_e32 vcc_lo, s25, v13
	v_cndmask_b32_e64 v17, 0, -1, vcc_lo
	v_cmp_le_u32_e32 vcc_lo, s24, v4
	;; [unrolled: 2-line block ×3, first 2 shown]
	v_cndmask_b32_e64 v18, 0, -1, vcc_lo
	v_cmp_eq_u32_e32 vcc_lo, s25, v13
	v_cndmask_b32_e64 v4, v18, v4, s0
	v_cndmask_b32_e32 v13, v17, v16, vcc_lo
	v_add_co_u32 v16, vcc_lo, v12, 1
	v_add_co_ci_u32_e32 v17, vcc_lo, 0, v6, vcc_lo
	v_cmp_ne_u32_e32 vcc_lo, 0, v13
	v_cndmask_b32_e32 v5, v17, v15, vcc_lo
	v_cndmask_b32_e32 v13, v16, v14, vcc_lo
	v_cmp_ne_u32_e32 vcc_lo, 0, v4
	v_cndmask_b32_e32 v6, v6, v5, vcc_lo
	v_cndmask_b32_e32 v5, v12, v13, vcc_lo
.LBB0_4:                                ;   in Loop: Header=BB0_2 Depth=1
	s_andn2_saveexec_b32 s0, s1
	s_cbranch_execz .LBB0_6
; %bb.5:                                ;   in Loop: Header=BB0_2 Depth=1
	v_cvt_f32_u32_e32 v4, s24
	s_sub_i32 s1, 0, s24
	v_rcp_iflag_f32_e32 v4, v4
	v_mul_f32_e32 v4, 0x4f7ffffe, v4
	v_cvt_u32_f32_e32 v4, v4
	v_mul_lo_u32 v5, s1, v4
	v_mul_hi_u32 v5, v4, v5
	v_add_nc_u32_e32 v4, v4, v5
	v_mul_hi_u32 v4, v9, v4
	v_mul_lo_u32 v5, v4, s24
	v_add_nc_u32_e32 v6, 1, v4
	v_sub_nc_u32_e32 v5, v9, v5
	v_subrev_nc_u32_e32 v12, s24, v5
	v_cmp_le_u32_e32 vcc_lo, s24, v5
	v_cndmask_b32_e32 v5, v5, v12, vcc_lo
	v_cndmask_b32_e32 v4, v4, v6, vcc_lo
	v_cmp_le_u32_e32 vcc_lo, s24, v5
	v_add_nc_u32_e32 v6, 1, v4
	v_cndmask_b32_e32 v5, v4, v6, vcc_lo
	v_mov_b32_e32 v6, v3
.LBB0_6:                                ;   in Loop: Header=BB0_2 Depth=1
	s_or_b32 exec_lo, exec_lo, s0
	v_mul_lo_u32 v4, v6, s24
	v_mul_lo_u32 v14, v5, s25
	s_load_dwordx2 s[0:1], s[6:7], 0x0
	v_mad_u64_u32 v[12:13], null, v5, s24, 0
	s_load_dwordx2 s[24:25], s[2:3], 0x0
	s_add_u32 s22, s22, 1
	s_addc_u32 s23, s23, 0
	s_add_u32 s2, s2, 8
	s_addc_u32 s3, s3, 0
	s_add_u32 s6, s6, 8
	v_add3_u32 v4, v13, v14, v4
	v_sub_co_u32 v9, vcc_lo, v9, v12
	s_addc_u32 s7, s7, 0
	s_add_u32 s20, s20, 8
	v_sub_co_ci_u32_e32 v4, vcc_lo, v10, v4, vcc_lo
	s_addc_u32 s21, s21, 0
	s_waitcnt lgkmcnt(0)
	v_mul_lo_u32 v10, s0, v4
	v_mul_lo_u32 v12, s1, v9
	v_mad_u64_u32 v[7:8], null, s0, v9, v[7:8]
	v_mul_lo_u32 v4, s24, v4
	v_mul_lo_u32 v13, s25, v9
	v_mad_u64_u32 v[1:2], null, s24, v9, v[1:2]
	v_cmp_ge_u64_e64 s0, s[22:23], s[14:15]
	v_add3_u32 v8, v12, v8, v10
	v_add3_u32 v2, v13, v2, v4
	s_and_b32 vcc_lo, exec_lo, s0
	s_cbranch_vccnz .LBB0_9
; %bb.7:                                ;   in Loop: Header=BB0_2 Depth=1
	v_mov_b32_e32 v10, v6
	v_mov_b32_e32 v9, v5
	s_branch .LBB0_2
.LBB0_8:
	v_mov_b32_e32 v1, v7
	v_mov_b32_e32 v5, v9
	;; [unrolled: 1-line block ×4, first 2 shown]
.LBB0_9:
	s_load_dwordx2 s[0:1], s[4:5], 0x28
	s_lshl_b64 s[4:5], s[14:15], 3
	v_and_b32_e32 v3, 15, v0
	s_add_u32 s2, s18, s4
	s_addc_u32 s3, s19, s5
	s_waitcnt lgkmcnt(0)
	v_cmp_gt_u64_e32 vcc_lo, s[0:1], v[5:6]
	v_cmp_le_u64_e64 s0, s[0:1], v[5:6]
	s_and_saveexec_b32 s1, s0
	s_xor_b32 s0, exec_lo, s1
; %bb.10:
	v_and_b32_e32 v3, 15, v0
                                        ; implicit-def: $vgpr7_vgpr8
; %bb.11:
	s_or_saveexec_b32 s1, s0
	s_load_dwordx2 s[2:3], s[2:3], 0x0
	v_mul_u32_u24_e32 v0, 0xb1, v11
	v_lshlrev_b32_e32 v9, 2, v0
	s_xor_b32 exec_lo, exec_lo, s1
	s_cbranch_execz .LBB0_15
; %bb.12:
	s_add_u32 s4, s16, s4
	s_addc_u32 s5, s17, s5
	v_lshlrev_b64 v[7:8], 2, v[7:8]
	s_load_dwordx2 s[4:5], s[4:5], 0x0
	s_waitcnt lgkmcnt(0)
	v_mul_lo_u32 v4, s5, v5
	v_mul_lo_u32 v12, s4, v6
	v_mad_u64_u32 v[10:11], null, s4, v5, 0
	s_mov_b32 s4, exec_lo
	v_add3_u32 v11, v11, v12, v4
	v_lshlrev_b32_e32 v12, 2, v3
	v_lshlrev_b64 v[10:11], 2, v[10:11]
	v_add_co_u32 v4, s0, s8, v10
	v_add_co_ci_u32_e64 v10, s0, s9, v11, s0
	v_add_co_u32 v7, s0, v4, v7
	v_add_co_ci_u32_e64 v8, s0, v10, v8, s0
	v_add3_u32 v4, 0, v9, v12
	v_add_co_u32 v10, s0, v7, v12
	v_add_co_ci_u32_e64 v11, s0, 0, v8, s0
	s_clause 0xa
	global_load_dword v13, v[10:11], off
	global_load_dword v14, v[10:11], off offset:64
	global_load_dword v15, v[10:11], off offset:128
	;; [unrolled: 1-line block ×10, first 2 shown]
	s_waitcnt vmcnt(9)
	ds_write2_b32 v4, v13, v14 offset1:16
	s_waitcnt vmcnt(7)
	ds_write2_b32 v4, v15, v16 offset0:32 offset1:48
	s_waitcnt vmcnt(5)
	ds_write2_b32 v4, v17, v18 offset0:64 offset1:80
	;; [unrolled: 2-line block ×4, first 2 shown]
	s_waitcnt vmcnt(0)
	ds_write_b32 v4, v10 offset:640
	v_cmpx_eq_u32_e32 15, v3
	s_cbranch_execz .LBB0_14
; %bb.13:
	global_load_dword v7, v[7:8], off offset:704
	v_mov_b32_e32 v3, 15
	s_waitcnt vmcnt(0)
	ds_write_b32 v4, v7 offset:644
.LBB0_14:
	s_or_b32 exec_lo, exec_lo, s4
.LBB0_15:
	s_or_b32 exec_lo, exec_lo, s1
	v_lshl_add_u32 v0, v0, 2, 0
	v_lshlrev_b32_e32 v10, 2, v3
	s_waitcnt lgkmcnt(0)
	s_barrier
	buffer_gl0_inv
	s_mov_b32 s1, exec_lo
	v_add_nc_u32_e32 v21, v0, v10
	v_sub_nc_u32_e32 v11, v0, v10
                                        ; implicit-def: $vgpr7_vgpr8
	ds_read_u16 v14, v21
	ds_read_u16 v15, v11 offset:704
	s_waitcnt lgkmcnt(0)
	v_add_f16_e32 v13, v15, v14
	v_sub_f16_e32 v12, v14, v15
	v_cmpx_ne_u32_e32 0, v3
	s_xor_b32 s1, exec_lo, s1
	s_cbranch_execz .LBB0_17
; %bb.16:
	v_mov_b32_e32 v4, 0
	v_add_f16_e32 v13, v15, v14
	v_sub_f16_e32 v14, v14, v15
	v_lshlrev_b64 v[7:8], 2, v[3:4]
	v_add_co_u32 v7, s0, s12, v7
	v_add_co_ci_u32_e64 v8, s0, s13, v8, s0
	global_load_dword v7, v[7:8], off offset:660
	ds_read_u16 v8, v11 offset:706
	ds_read_u16 v12, v21 offset:2
	s_waitcnt lgkmcnt(0)
	v_add_f16_e32 v15, v8, v12
	v_sub_f16_e32 v8, v12, v8
	s_waitcnt vmcnt(0)
	v_lshrrev_b32_e32 v16, 16, v7
	v_fma_f16 v17, -v14, v16, v13
	v_fma_f16 v18, v15, v16, -v8
	v_fma_f16 v12, v15, v16, v8
	v_fma_f16 v13, v14, v16, v13
	v_fmac_f16_e32 v17, v7, v15
	v_fmac_f16_e32 v18, v14, v7
	;; [unrolled: 1-line block ×3, first 2 shown]
	v_fma_f16 v13, -v7, v15, v13
	v_mov_b32_e32 v8, v4
	v_mov_b32_e32 v7, v3
	v_pack_b32_f16 v14, v17, v18
	ds_write_b32 v11, v14 offset:704
.LBB0_17:
	s_andn2_saveexec_b32 s0, s1
	s_cbranch_execz .LBB0_19
; %bb.18:
	ds_read_b32 v4, v0 offset:352
	v_mov_b32_e32 v7, 0
	v_mov_b32_e32 v8, 0
	s_waitcnt lgkmcnt(0)
	v_pk_mul_f16 v4, 0xc0004000, v4
	ds_write_b32 v0, v4 offset:352
.LBB0_19:
	s_or_b32 exec_lo, exec_lo, s0
	v_lshlrev_b64 v[7:8], 2, v[7:8]
	s_add_u32 s0, s12, 0x294
	s_addc_u32 s1, s13, 0
	v_perm_b32 v12, v12, v13, 0x5040100
	v_add_co_u32 v7, s0, s0, v7
	v_add_co_ci_u32_e64 v8, s0, s1, v8, s0
	s_mov_b32 s1, exec_lo
	s_clause 0x3
	global_load_dword v4, v[7:8], off offset:64
	global_load_dword v14, v[7:8], off offset:128
	global_load_dword v15, v[7:8], off offset:192
	global_load_dword v16, v[7:8], off offset:256
	ds_write_b32 v21, v12
	ds_read_b32 v12, v21 offset:64
	ds_read_b32 v13, v11 offset:640
	s_waitcnt lgkmcnt(0)
	v_add_f16_e32 v17, v12, v13
	v_add_f16_sdwa v18, v13, v12 dst_sel:DWORD dst_unused:UNUSED_PAD src0_sel:WORD_1 src1_sel:WORD_1
	v_sub_f16_e32 v19, v12, v13
	v_sub_f16_sdwa v12, v12, v13 dst_sel:DWORD dst_unused:UNUSED_PAD src0_sel:WORD_1 src1_sel:WORD_1
	s_waitcnt vmcnt(3)
	v_lshrrev_b32_e32 v20, 16, v4
	v_fma_f16 v13, v19, v20, v17
	v_fma_f16 v22, v18, v20, v12
	v_fma_f16 v17, -v19, v20, v17
	v_fma_f16 v12, v18, v20, -v12
	v_fma_f16 v13, -v4, v18, v13
	v_fmac_f16_e32 v22, v19, v4
	v_fmac_f16_e32 v17, v4, v18
	;; [unrolled: 1-line block ×3, first 2 shown]
	v_pack_b32_f16 v4, v13, v22
	s_waitcnt vmcnt(2)
	v_lshrrev_b32_e32 v13, 16, v14
	v_pack_b32_f16 v12, v17, v12
	ds_write_b32 v21, v4 offset:64
	ds_write_b32 v11, v12 offset:640
	ds_read_b32 v4, v21 offset:128
	ds_read_b32 v12, v11 offset:576
	s_waitcnt lgkmcnt(0)
	v_add_f16_e32 v17, v4, v12
	v_add_f16_sdwa v18, v12, v4 dst_sel:DWORD dst_unused:UNUSED_PAD src0_sel:WORD_1 src1_sel:WORD_1
	v_sub_f16_e32 v19, v4, v12
	v_sub_f16_sdwa v4, v4, v12 dst_sel:DWORD dst_unused:UNUSED_PAD src0_sel:WORD_1 src1_sel:WORD_1
	v_fma_f16 v12, v19, v13, v17
	v_fma_f16 v20, v18, v13, v4
	v_fma_f16 v17, -v19, v13, v17
	v_fma_f16 v4, v18, v13, -v4
	s_waitcnt vmcnt(1)
	v_lshrrev_b32_e32 v13, 16, v15
	v_fma_f16 v12, -v14, v18, v12
	v_fmac_f16_e32 v20, v19, v14
	v_fmac_f16_e32 v17, v14, v18
	;; [unrolled: 1-line block ×3, first 2 shown]
	v_pack_b32_f16 v12, v12, v20
	v_pack_b32_f16 v4, v17, v4
	ds_write_b32 v21, v12 offset:128
	ds_write_b32 v11, v4 offset:576
	ds_read_b32 v4, v21 offset:192
	ds_read_b32 v12, v11 offset:512
	s_waitcnt lgkmcnt(0)
	v_add_f16_e32 v14, v4, v12
	v_add_f16_sdwa v17, v12, v4 dst_sel:DWORD dst_unused:UNUSED_PAD src0_sel:WORD_1 src1_sel:WORD_1
	v_sub_f16_e32 v18, v4, v12
	v_sub_f16_sdwa v4, v4, v12 dst_sel:DWORD dst_unused:UNUSED_PAD src0_sel:WORD_1 src1_sel:WORD_1
	v_fma_f16 v12, v18, v13, v14
	v_fma_f16 v19, v17, v13, v4
	v_fma_f16 v14, -v18, v13, v14
	v_fma_f16 v4, v17, v13, -v4
	s_waitcnt vmcnt(0)
	v_lshrrev_b32_e32 v13, 16, v16
	v_fma_f16 v12, -v15, v17, v12
	v_fmac_f16_e32 v19, v18, v15
	v_fmac_f16_e32 v14, v15, v17
	;; [unrolled: 1-line block ×3, first 2 shown]
	v_pack_b32_f16 v12, v12, v19
	v_pack_b32_f16 v4, v14, v4
	ds_write_b32 v21, v12 offset:192
	ds_write_b32 v11, v4 offset:512
	ds_read_b32 v4, v21 offset:256
	ds_read_b32 v12, v11 offset:448
	s_waitcnt lgkmcnt(0)
	v_add_f16_e32 v14, v4, v12
	v_add_f16_sdwa v15, v12, v4 dst_sel:DWORD dst_unused:UNUSED_PAD src0_sel:WORD_1 src1_sel:WORD_1
	v_sub_f16_e32 v17, v4, v12
	v_sub_f16_sdwa v4, v4, v12 dst_sel:DWORD dst_unused:UNUSED_PAD src0_sel:WORD_1 src1_sel:WORD_1
	v_fma_f16 v12, v17, v13, v14
	v_fma_f16 v18, v15, v13, v4
	v_fma_f16 v14, -v17, v13, v14
	v_fma_f16 v4, v15, v13, -v4
	v_or_b32_e32 v13, 0x50, v3
	v_fma_f16 v12, -v16, v15, v12
	v_fmac_f16_e32 v18, v17, v16
	v_fmac_f16_e32 v14, v16, v15
	;; [unrolled: 1-line block ×3, first 2 shown]
	v_pack_b32_f16 v12, v12, v18
	v_pack_b32_f16 v4, v14, v4
	ds_write_b32 v21, v12 offset:256
	ds_write_b32 v11, v4 offset:448
	v_cmpx_gt_u32_e32 0x58, v13
	s_cbranch_execz .LBB0_21
; %bb.20:
	global_load_dword v4, v[7:8], off offset:320
	ds_read_b32 v7, v21 offset:320
	ds_read_b32 v8, v11 offset:384
	s_waitcnt lgkmcnt(0)
	v_add_f16_e32 v12, v7, v8
	v_add_f16_sdwa v13, v8, v7 dst_sel:DWORD dst_unused:UNUSED_PAD src0_sel:WORD_1 src1_sel:WORD_1
	v_sub_f16_e32 v14, v7, v8
	v_sub_f16_sdwa v7, v7, v8 dst_sel:DWORD dst_unused:UNUSED_PAD src0_sel:WORD_1 src1_sel:WORD_1
	s_waitcnt vmcnt(0)
	v_lshrrev_b32_e32 v15, 16, v4
	v_fma_f16 v8, v14, v15, v12
	v_fma_f16 v16, v13, v15, v7
	v_fma_f16 v12, -v14, v15, v12
	v_fma_f16 v7, v13, v15, -v7
	v_fma_f16 v8, -v4, v13, v8
	v_fmac_f16_e32 v16, v14, v4
	v_fmac_f16_e32 v12, v4, v13
	;; [unrolled: 1-line block ×3, first 2 shown]
	v_pack_b32_f16 v4, v8, v16
	v_pack_b32_f16 v7, v12, v7
	ds_write_b32 v21, v4 offset:320
	ds_write_b32 v11, v7 offset:384
.LBB0_21:
	s_or_b32 exec_lo, exec_lo, s1
	v_add3_u32 v4, 0, v10, v9
	s_waitcnt lgkmcnt(0)
	s_barrier
	buffer_gl0_inv
	s_barrier
	buffer_gl0_inv
	ds_read_b32 v17, v21
	ds_read2_b32 v[7:8], v4 offset0:16 offset1:32
	ds_read2_b32 v[9:10], v4 offset0:144 offset1:160
	;; [unrolled: 1-line block ×5, first 2 shown]
	v_mov_b32_e32 v18, 0xb853
	v_mov_b32_e32 v19, 0x3abb
	;; [unrolled: 1-line block ×9, first 2 shown]
	s_waitcnt lgkmcnt(0)
	s_barrier
	buffer_gl0_inv
	v_pk_add_f16 v22, v17, v7
	v_pk_add_f16 v29, v7, v10 neg_lo:[0,1] neg_hi:[0,1]
	v_pk_add_f16 v30, v10, v7
	v_pk_add_f16 v31, v9, v8
	v_pk_add_f16 v32, v8, v9 neg_lo:[0,1] neg_hi:[0,1]
	v_pk_add_f16 v7, v22, v8
	v_mul_f16_sdwa v8, v29, v18 dst_sel:DWORD dst_unused:UNUSED_PAD src0_sel:WORD_1 src1_sel:DWORD
	v_mul_f16_sdwa v22, v30, v19 dst_sel:DWORD dst_unused:UNUSED_PAD src0_sel:WORD_1 src1_sel:DWORD
	v_pk_mul_f16 v28, 0xbbebbb47, v29
	v_mul_f16_sdwa v25, v29, v20 dst_sel:DWORD dst_unused:UNUSED_PAD src0_sel:WORD_1 src1_sel:DWORD
	v_pk_add_f16 v7, v7, v11
	v_mul_f16_sdwa v33, v30, v23 dst_sel:DWORD dst_unused:UNUSED_PAD src0_sel:WORD_1 src1_sel:DWORD
	v_mul_f16_sdwa v34, v29, v24 dst_sel:DWORD dst_unused:UNUSED_PAD src0_sel:WORD_1 src1_sel:DWORD
	;; [unrolled: 1-line block ×4, first 2 shown]
	v_pk_add_f16 v7, v7, v12
	v_mul_f16_sdwa v36, v31, v27 dst_sel:DWORD dst_unused:UNUSED_PAD src0_sel:WORD_1 src1_sel:DWORD
	v_fmamk_f16 v37, v30, 0x3abb, v8
	v_fmamk_f16 v38, v29, 0x3853, v22
	v_fma_f16 v8, v30, 0x3abb, -v8
	v_pk_add_f16 v7, v7, v13
	v_fmac_f16_e32 v22, 0xb853, v29
	v_pk_fma_f16 v41, 0x36a6b08e, v30, v28 op_sel:[0,0,1] op_sel_hi:[1,1,0] neg_lo:[0,0,1] neg_hi:[0,0,1]
	v_pk_fma_f16 v28, 0x36a6b08e, v30, v28 op_sel:[0,0,1] op_sel_hi:[1,1,0]
	v_fmamk_f16 v40, v29, 0x3beb, v33
	v_pk_add_f16 v7, v7, v14
	v_fmac_f16_e32 v33, 0xbbeb, v29
	v_fmamk_f16 v42, v30, 0xb93d, v34
	v_fmamk_f16 v43, v29, 0x3a0c, v35
	v_fma_f16 v34, v30, 0xb93d, -v34
	v_pk_add_f16 v7, v7, v15
	v_fmac_f16_e32 v35, 0xba0c, v29
	v_fmamk_f16 v44, v31, 0x36a6, v20
	v_fmamk_f16 v45, v32, 0x3b47, v36
	v_add_f16_e32 v37, v17, v37
	v_pk_add_f16 v7, v7, v16
	v_add_f16_sdwa v38, v17, v38 dst_sel:DWORD dst_unused:UNUSED_PAD src0_sel:WORD_1 src1_sel:DWORD
	v_add_f16_e32 v8, v17, v8
	v_add_f16_sdwa v46, v17, v22 dst_sel:DWORD dst_unused:UNUSED_PAD src0_sel:WORD_1 src1_sel:DWORD
	v_bfi_b32 v22, 0xffff, v41, v28
	v_pk_add_f16 v7, v7, v9
	v_fma_f16 v20, v31, 0x36a6, -v20
	v_fmamk_f16 v39, v30, 0x36a6, v25
	v_add_f16_sdwa v9, v17, v33 dst_sel:DWORD dst_unused:UNUSED_PAD src0_sel:WORD_1 src1_sel:DWORD
	v_add_f16_e32 v33, v17, v42
	v_add_f16_sdwa v42, v17, v43 dst_sel:DWORD dst_unused:UNUSED_PAD src0_sel:WORD_1 src1_sel:DWORD
	v_pk_add_f16 v43, v17, v22
	v_pk_add_f16 v22, v7, v10
	v_add_f16_e32 v7, v17, v34
	v_add_f16_sdwa v10, v17, v35 dst_sel:DWORD dst_unused:UNUSED_PAD src0_sel:WORD_1 src1_sel:DWORD
	v_add_f16_e32 v34, v44, v37
	v_add_f16_e32 v35, v45, v38
	v_fmac_f16_e32 v36, 0xbb47, v32
	v_mov_b32_e32 v37, 0xbbad
	v_pk_mul_f16 v38, 0x3482ba0c, v32
	v_add_f16_e32 v8, v20, v8
	v_mul_f16_sdwa v20, v32, v24 dst_sel:DWORD dst_unused:UNUSED_PAD src0_sel:WORD_1 src1_sel:DWORD
	v_fma_f16 v25, v30, 0x36a6, -v25
	v_add_f16_e32 v39, v17, v39
	v_add_f16_e32 v36, v36, v46
	v_mul_f16_sdwa v44, v31, v37 dst_sel:DWORD dst_unused:UNUSED_PAD src0_sel:WORD_1 src1_sel:DWORD
	v_pk_fma_f16 v45, 0xb93dbbad, v31, v38 op_sel:[0,0,1] op_sel_hi:[1,1,0] neg_lo:[0,0,1] neg_hi:[0,0,1]
	v_pk_fma_f16 v38, 0xb93dbbad, v31, v38 op_sel:[0,0,1] op_sel_hi:[1,1,0]
	v_fmamk_f16 v46, v31, 0xb93d, v20
	v_add_f16_e32 v25, v17, v25
	v_add_f16_sdwa v40, v17, v40 dst_sel:DWORD dst_unused:UNUSED_PAD src0_sel:WORD_1 src1_sel:DWORD
	v_fma_f16 v20, v31, 0xb93d, -v20
	v_fmamk_f16 v48, v32, 0xb482, v44
	v_bfi_b32 v49, 0xffff, v45, v38
	v_add_f16_e32 v39, v46, v39
	v_mul_f16_sdwa v46, v32, v47 dst_sel:DWORD dst_unused:UNUSED_PAD src0_sel:WORD_1 src1_sel:DWORD
	v_add_f16_e32 v20, v20, v25
	v_add_f16_e32 v25, v48, v40
	v_pk_add_f16 v40, v49, v43
	v_fmac_f16_e32 v44, 0x3482, v32
	v_fmamk_f16 v43, v31, 0xb08e, v46
	v_mul_f16_sdwa v48, v31, v23 dst_sel:DWORD dst_unused:UNUSED_PAD src0_sel:WORD_1 src1_sel:DWORD
	v_pk_add_f16 v49, v11, v16 neg_lo:[0,1] neg_hi:[0,1]
	v_pk_add_f16 v11, v16, v11
	v_add_f16_e32 v9, v44, v9
	v_add_f16_e32 v33, v43, v33
	v_fmamk_f16 v43, v32, 0xbbeb, v48
	v_mul_f16_sdwa v16, v49, v50 dst_sel:DWORD dst_unused:UNUSED_PAD src0_sel:WORD_1 src1_sel:DWORD
	v_fma_f16 v44, v31, 0xb08e, -v46
	v_mul_f16_sdwa v23, v11, v23 dst_sel:DWORD dst_unused:UNUSED_PAD src0_sel:WORD_1 src1_sel:DWORD
	v_mul_f16_sdwa v18, v49, v18 dst_sel:DWORD dst_unused:UNUSED_PAD src0_sel:WORD_1 src1_sel:DWORD
	v_add_f16_e32 v42, v43, v42
	v_fmamk_f16 v43, v11, 0xb08e, v16
	v_add_f16_e32 v7, v44, v7
	v_mov_b32_e32 v44, 0x3482
	v_fmamk_f16 v46, v49, 0x3beb, v23
	v_fma_f16 v16, v11, 0xb08e, -v16
	v_add_f16_e32 v34, v43, v34
	v_fmac_f16_e32 v23, 0xbbeb, v49
	v_mul_f16_sdwa v43, v49, v44 dst_sel:DWORD dst_unused:UNUSED_PAD src0_sel:WORD_1 src1_sel:DWORD
	v_fmac_f16_e32 v48, 0x3beb, v32
	v_add_f16_e32 v8, v16, v8
	v_pk_mul_f16 v44, 0x3b473482, v49
	v_add_f16_e32 v16, v23, v36
	v_fmamk_f16 v23, v11, 0xbbad, v43
	v_mul_f16_sdwa v36, v11, v27 dst_sel:DWORD dst_unused:UNUSED_PAD src0_sel:WORD_1 src1_sel:DWORD
	v_fma_f16 v43, v11, 0xbbad, -v43
	v_add_f16_e32 v10, v48, v10
	v_add_f16_e32 v35, v46, v35
	v_add_f16_e32 v23, v23, v39
	v_fmamk_f16 v39, v49, 0xbb47, v36
	v_fmac_f16_e32 v36, 0x3b47, v49
	v_add_f16_e32 v20, v43, v20
	v_mul_f16_sdwa v43, v11, v19 dst_sel:DWORD dst_unused:UNUSED_PAD src0_sel:WORD_1 src1_sel:DWORD
	v_pk_fma_f16 v46, 0xbbad36a6, v11, v44 op_sel:[0,0,1] op_sel_hi:[1,1,0] neg_lo:[0,0,1] neg_hi:[0,0,1]
	v_add_f16_e32 v25, v39, v25
	v_add_f16_e32 v9, v36, v9
	v_pk_add_f16 v36, v12, v15 neg_lo:[0,1] neg_hi:[0,1]
	v_fmamk_f16 v39, v11, 0x3abb, v18
	v_pk_add_f16 v15, v15, v12
	v_fma_f16 v18, v11, 0x3abb, -v18
	v_fmamk_f16 v12, v49, 0x3853, v43
	v_mul_f16_sdwa v24, v36, v24 dst_sel:DWORD dst_unused:UNUSED_PAD src0_sel:WORD_1 src1_sel:DWORD
	v_add_f16_e32 v33, v39, v33
	v_mul_f16_sdwa v39, v15, v26 dst_sel:DWORD dst_unused:UNUSED_PAD src0_sel:WORD_1 src1_sel:DWORD
	v_add_f16_e32 v7, v18, v7
	v_pk_fma_f16 v44, 0xbbad36a6, v11, v44 op_sel:[0,0,1] op_sel_hi:[1,1,0]
	v_fmamk_f16 v18, v15, 0xb93d, v24
	v_fma_f16 v24, v15, 0xb93d, -v24
	v_fmac_f16_e32 v43, 0xb853, v49
	v_add_f16_e32 v12, v12, v42
	v_fmamk_f16 v42, v36, 0x3a0c, v39
	v_fmac_f16_e32 v39, 0xba0c, v36
	v_add_f16_e32 v18, v18, v34
	v_mul_f16_sdwa v34, v36, v47 dst_sel:DWORD dst_unused:UNUSED_PAD src0_sel:WORD_1 src1_sel:DWORD
	v_add_f16_e32 v8, v24, v8
	v_pk_mul_f16 v24, 0xb8533beb, v36
	v_bfi_b32 v48, 0xffff, v46, v44
	v_add_f16_e32 v10, v43, v10
	v_add_f16_e32 v16, v39, v16
	v_fmamk_f16 v39, v15, 0xb08e, v34
	v_fma_f16 v34, v15, 0xb08e, -v34
	v_mul_f16_sdwa v19, v15, v19 dst_sel:DWORD dst_unused:UNUSED_PAD src0_sel:WORD_1 src1_sel:DWORD
	v_pk_fma_f16 v43, 0xb08e3abb, v15, v24 op_sel:[0,0,1] op_sel_hi:[1,1,0] neg_lo:[0,0,1] neg_hi:[0,0,1]
	v_pk_fma_f16 v47, 0xb08e3abb, v15, v24 op_sel:[0,0,1] op_sel_hi:[1,1,0]
	v_pk_add_f16 v40, v48, v40
	v_add_f16_e32 v35, v42, v35
	v_mov_b32_e32 v42, 0xb482
	v_add_f16_e32 v24, v39, v23
	v_fmamk_f16 v23, v36, 0x3853, v19
	v_add_f16_e32 v20, v34, v20
	v_bfi_b32 v34, 0xffff, v43, v47
	v_mul_f16_sdwa v39, v36, v42 dst_sel:DWORD dst_unused:UNUSED_PAD src0_sel:WORD_1 src1_sel:DWORD
	v_fmac_f16_e32 v19, 0xb853, v36
	v_add_f16_e32 v48, v23, v25
	v_mul_f16_sdwa v25, v15, v37 dst_sel:DWORD dst_unused:UNUSED_PAD src0_sel:WORD_1 src1_sel:DWORD
	v_pk_add_f16 v34, v34, v40
	v_pk_add_f16 v40, v13, v14 neg_lo:[0,1] neg_hi:[0,1]
	v_add_f16_e32 v19, v19, v9
	v_pk_add_f16 v50, v14, v13
	v_fmamk_f16 v9, v36, 0x3482, v25
	v_fma_f16 v13, v15, 0xbbad, -v39
	v_mul_f16_sdwa v14, v40, v42 dst_sel:DWORD dst_unused:UNUSED_PAD src0_sel:WORD_1 src1_sel:DWORD
	v_fmac_f16_e32 v25, 0xb482, v36
	v_fmamk_f16 v23, v15, 0xbbad, v39
	v_add_f16_e32 v39, v9, v12
	v_mul_f16_sdwa v12, v50, v37 dst_sel:DWORD dst_unused:UNUSED_PAD src0_sel:WORD_1 src1_sel:DWORD
	v_add_f16_e32 v13, v13, v7
	v_fmamk_f16 v7, v50, 0xbbad, v14
	v_add_f16_e32 v37, v25, v10
	v_mov_b32_e32 v10, 0x3853
	v_add_f16_e32 v33, v23, v33
	v_fmamk_f16 v23, v40, 0x3482, v12
	v_add_f16_e32 v9, v7, v18
	v_fmac_f16_e32 v12, 0xb482, v40
	v_mul_f16_sdwa v7, v40, v10 dst_sel:DWORD dst_unused:UNUSED_PAD src0_sel:WORD_1 src1_sel:DWORD
	v_fma_f16 v14, v50, 0xbbad, -v14
	v_add_f16_e32 v25, v23, v35
	v_pk_mul_f16 v10, 0xba0c3853, v40
	v_add_f16_e32 v23, v12, v16
	v_fmamk_f16 v12, v50, 0x3abb, v7
	v_mul_f16_sdwa v16, v50, v26 dst_sel:DWORD dst_unused:UNUSED_PAD src0_sel:WORD_1 src1_sel:DWORD
	v_add_f16_e32 v8, v14, v8
	v_fma_f16 v7, v50, 0x3abb, -v7
	v_pk_fma_f16 v18, 0x3abbb93d, v50, v10 op_sel:[0,0,1] op_sel_hi:[1,1,0] neg_lo:[0,0,1] neg_hi:[0,0,1]
	v_pk_fma_f16 v35, 0x3abbb93d, v50, v10 op_sel:[0,0,1] op_sel_hi:[1,1,0]
	v_add_f16_e32 v10, v12, v24
	v_fmamk_f16 v12, v40, 0x3a0c, v16
	v_mov_b32_e32 v14, 0x3b47
	v_fmac_f16_e32 v16, 0xba0c, v40
	v_add_f16_e32 v7, v7, v20
	v_bfi_b32 v20, 0xffff, v18, v35
	v_add_f16_e32 v26, v12, v48
	v_mul_f16_sdwa v12, v40, v14 dst_sel:DWORD dst_unused:UNUSED_PAD src0_sel:WORD_1 src1_sel:DWORD
	v_mul_f16_sdwa v42, v50, v27 dst_sel:DWORD dst_unused:UNUSED_PAD src0_sel:WORD_1 src1_sel:DWORD
	v_add_f16_e32 v24, v16, v19
	v_bfi_b32 v16, 0xffff, v28, v41
	v_pk_add_f16 v14, v20, v34
	v_fmamk_f16 v19, v50, 0x36a6, v12
	v_fmamk_f16 v20, v40, 0xbb47, v42
	v_bfi_b32 v34, 0xffff, v38, v45
	v_pk_add_f16 v16, v17, v16
	v_fma_f16 v28, v50, 0x36a6, -v12
	v_add_f16_e32 v12, v19, v33
	v_add_f16_e32 v27, v20, v39
	v_bfi_b32 v19, 0xffff, v44, v46
	v_pk_add_f16 v16, v34, v16
	v_pk_mul_f16 v20, 0xbbad, v30 op_sel_hi:[0,1]
	v_fmac_f16_e32 v42, 0x3b47, v40
	v_bfi_b32 v30, 0xffff, v47, v43
	v_pk_mul_f16 v31, 0x3abb, v31 op_sel_hi:[0,1]
	v_pk_add_f16 v16, v19, v16
	v_pk_fma_f16 v19, 0xb482, v29, v20 op_sel:[0,0,1] op_sel_hi:[0,1,0]
	v_add_f16_e32 v13, v28, v13
	v_add_f16_e32 v28, v42, v37
	v_pk_fma_f16 v20, 0xb482, v29, v20 op_sel:[0,0,1] op_sel_hi:[0,1,0] neg_lo:[0,1,0] neg_hi:[0,1,0]
	v_pk_add_f16 v16, v30, v16
	v_alignbit_b32 v37, s0, v19, 16
	v_pk_fma_f16 v30, 0x3853, v32, v31 op_sel:[0,0,1] op_sel_hi:[0,1,0]
	v_pk_mul_f16 v11, 0xb93d, v11 op_sel_hi:[0,1]
	v_bfi_b32 v18, 0xffff, v35, v18
	v_alignbit_b32 v35, s0, v17, 16
	v_pk_add_f16 v29, v17, v37
	v_alignbit_b32 v37, s0, v30, 16
	v_pk_add_f16 v17, v17, v20 op_sel:[1,0] op_sel_hi:[0,1]
	v_pk_fma_f16 v20, 0x3853, v32, v31 op_sel:[0,0,1] op_sel_hi:[0,1,0] neg_lo:[0,1,0] neg_hi:[0,1,0]
	v_pk_fma_f16 v31, 0xba0c, v49, v11 op_sel:[0,0,1] op_sel_hi:[0,1,0]
	v_pk_add_f16 v19, v35, v19
	v_pk_add_f16 v29, v37, v29
	v_pk_mul_f16 v15, 0x36a6, v15 op_sel_hi:[0,1]
	v_pk_add_f16 v17, v20, v17
	v_alignbit_b32 v20, s0, v31, 16
	v_pk_fma_f16 v32, 0xba0c, v49, v11 op_sel:[0,0,1] op_sel_hi:[0,1,0] neg_lo:[0,1,0] neg_hi:[0,1,0]
	v_pk_add_f16 v11, v18, v16
	v_pk_fma_f16 v16, 0x3b47, v36, v15 op_sel:[0,0,1] op_sel_hi:[0,1,0]
	v_pk_add_f16 v18, v30, v19
	v_pk_add_f16 v19, v20, v29
	v_pk_mul_f16 v20, 0xb08e, v50 op_sel_hi:[0,1]
	v_pk_add_f16 v17, v32, v17
	v_alignbit_b32 v29, s0, v16, 16
	v_pk_fma_f16 v15, 0x3b47, v36, v15 op_sel:[0,0,1] op_sel_hi:[0,1,0] neg_lo:[0,1,0] neg_hi:[0,1,0]
	v_pk_add_f16 v18, v31, v18
	v_pk_fma_f16 v30, 0xbbeb, v40, v20 op_sel:[0,0,1] op_sel_hi:[0,1,0]
	v_mad_u32_u24 v34, v3, 40, v4
	v_pk_add_f16 v19, v29, v19
	v_pk_add_f16 v15, v15, v17
	v_pk_fma_f16 v17, 0xbbeb, v40, v20 op_sel:[0,0,1] op_sel_hi:[0,1,0] neg_lo:[0,1,0] neg_hi:[0,1,0]
	v_pk_add_f16 v16, v16, v18
	v_alignbit_b32 v18, s0, v30, 16
	v_pack_b32_f16 v33, v9, v25
	v_bfi_b32 v32, 0xffff, v10, v11
	v_pk_add_f16 v29, v17, v15
	v_pk_add_f16 v30, v30, v16
	;; [unrolled: 1-line block ×3, first 2 shown]
	v_pack_b32_f16 v20, v11, v26
	v_pack_b32_f16 v31, v12, v27
	ds_write2_b32 v34, v22, v33 offset1:1
	ds_write2_b32 v34, v32, v20 offset0:2 offset1:3
	ds_write_b32 v34, v31 offset:16
	v_alignbit_b32 v15, v30, v29, 16
	v_pack_b32_f16 v16, v17, v29
	v_pack_b32_f16 v20, v14, v24
	v_lshrrev_b32_e32 v18, 16, v29
	v_bfi_b32 v31, 0xffff, v7, v14
	v_pack_b32_f16 v32, v8, v23
	v_cmp_gt_u32_e64 s0, 11, v3
	v_lshrrev_b32_e32 v33, 16, v11
	v_pack_b32_f16 v19, v13, v28
	ds_write2_b32 v34, v16, v15 offset0:5 offset1:6
	ds_write2_b32 v34, v19, v20 offset0:7 offset1:8
	;; [unrolled: 1-line block ×3, first 2 shown]
	s_waitcnt lgkmcnt(0)
	s_barrier
	buffer_gl0_inv
                                        ; implicit-def: $vgpr32
                                        ; implicit-def: $vgpr15
                                        ; implicit-def: $vgpr31
                                        ; implicit-def: $vgpr34
                                        ; implicit-def: $vgpr19
                                        ; implicit-def: $vgpr36
                                        ; implicit-def: $vgpr37
                                        ; implicit-def: $vgpr35
	s_and_saveexec_b32 s1, s0
	s_cbranch_execz .LBB0_23
; %bb.22:
	ds_read2_b32 v[13:14], v4 offset0:77 offset1:88
	ds_read2_b32 v[7:8], v4 offset0:99 offset1:110
	ds_read2_b32 v[15:16], v4 offset0:121 offset1:132
	ds_read2_b32 v[19:20], v4 offset0:143 offset1:154
	ds_read_b32 v35, v4 offset:660
	ds_read2_b32 v[9:10], v4 offset0:11 offset1:22
	ds_read2_b32 v[11:12], v4 offset0:33 offset1:44
	ds_read2_b32 v[17:18], v4 offset0:55 offset1:66
	ds_read_b32 v22, v21
	s_waitcnt lgkmcnt(8)
	v_lshrrev_b32_e32 v24, 16, v14
	s_waitcnt lgkmcnt(7)
	v_lshrrev_b32_e32 v23, 16, v8
	;; [unrolled: 2-line block ×3, first 2 shown]
	v_lshrrev_b32_e32 v31, 16, v16
	s_waitcnt lgkmcnt(5)
	v_lshrrev_b32_e32 v34, 16, v19
	v_lshrrev_b32_e32 v36, 16, v20
	s_waitcnt lgkmcnt(4)
	v_lshrrev_b32_e32 v37, 16, v35
	s_waitcnt lgkmcnt(3)
	v_lshrrev_b32_e32 v25, 16, v9
	v_lshrrev_b32_e32 v33, 16, v10
	s_waitcnt lgkmcnt(2)
	v_lshrrev_b32_e32 v26, 16, v11
	v_lshrrev_b32_e32 v27, 16, v12
	s_waitcnt lgkmcnt(1)
	v_lshrrev_b32_e32 v29, 16, v17
	v_lshrrev_b32_e32 v30, 16, v18
	v_lshrrev_b32_e32 v28, 16, v13
	v_bfi_b32 v14, 0xffff, v14, v7
.LBB0_23:
	s_or_b32 exec_lo, exec_lo, s1
	s_waitcnt lgkmcnt(0)
	s_barrier
	buffer_gl0_inv
	s_and_saveexec_b32 s1, s0
	s_cbranch_execz .LBB0_25
; %bb.24:
	v_add_nc_u32_e32 v38, -11, v3
	v_mov_b32_e32 v39, 0
	v_lshrrev_b32_e32 v53, 16, v14
	v_lshrrev_b32_e32 v54, 16, v22
	v_cndmask_b32_e64 v38, v38, v3, s0
	v_mul_i32_i24_e32 v38, 15, v38
	v_lshlrev_b64 v[38:39], 2, v[38:39]
	v_add_co_u32 v46, s0, s12, v38
	v_add_co_ci_u32_e64 v47, s0, s13, v39, s0
	s_clause 0x3
	global_load_dwordx3 v[50:52], v[46:47], off offset:48
	global_load_dwordx4 v[38:41], v[46:47], off
	global_load_dwordx4 v[42:45], v[46:47], off offset:16
	global_load_dwordx4 v[46:49], v[46:47], off offset:32
	s_waitcnt vmcnt(3)
	v_mul_f16_sdwa v59, v37, v52 dst_sel:DWORD dst_unused:UNUSED_PAD src0_sel:DWORD src1_sel:WORD_1
	v_mul_f16_sdwa v55, v34, v50 dst_sel:DWORD dst_unused:UNUSED_PAD src0_sel:DWORD src1_sel:WORD_1
	;; [unrolled: 1-line block ×6, first 2 shown]
	s_waitcnt vmcnt(1)
	v_mul_f16_sdwa v62, v28, v44 dst_sel:DWORD dst_unused:UNUSED_PAD src0_sel:DWORD src1_sel:WORD_1
	v_fmac_f16_e32 v59, v35, v52
	v_mul_f16_sdwa v35, v33, v39 dst_sel:DWORD dst_unused:UNUSED_PAD src0_sel:DWORD src1_sel:WORD_1
	v_mul_f16_sdwa v61, v9, v38 dst_sel:DWORD dst_unused:UNUSED_PAD src0_sel:DWORD src1_sel:WORD_1
	v_fmac_f16_e32 v55, v19, v50
	v_fmac_f16_e32 v56, v20, v51
	v_mul_f16_sdwa v19, v29, v42 dst_sel:DWORD dst_unused:UNUSED_PAD src0_sel:DWORD src1_sel:WORD_1
	v_mul_f16_sdwa v20, v13, v44 dst_sel:DWORD dst_unused:UNUSED_PAD src0_sel:DWORD src1_sel:WORD_1
	v_fma_f16 v37, v37, v52, -v60
	v_mul_f16_sdwa v52, v25, v38 dst_sel:DWORD dst_unused:UNUSED_PAD src0_sel:DWORD src1_sel:WORD_1
	v_fma_f16 v36, v36, v51, -v57
	;; [unrolled: 2-line block ×3, first 2 shown]
	v_mul_f16_sdwa v50, v30, v43 dst_sel:DWORD dst_unused:UNUSED_PAD src0_sel:DWORD src1_sel:WORD_1
	v_mul_f16_sdwa v57, v18, v43 dst_sel:DWORD dst_unused:UNUSED_PAD src0_sel:DWORD src1_sel:WORD_1
	s_waitcnt vmcnt(0)
	v_mul_f16_sdwa v60, v23, v47 dst_sel:DWORD dst_unused:UNUSED_PAD src0_sel:DWORD src1_sel:WORD_1
	v_fmac_f16_e32 v62, v13, v44
	v_mul_f16_sdwa v13, v53, v46 dst_sel:DWORD dst_unused:UNUSED_PAD src0_sel:DWORD src1_sel:WORD_1
	v_fmac_f16_e32 v35, v10, v39
	v_mul_f16_sdwa v10, v11, v40 dst_sel:DWORD dst_unused:UNUSED_PAD src0_sel:DWORD src1_sel:WORD_1
	v_mul_f16_sdwa v58, v17, v42 dst_sel:DWORD dst_unused:UNUSED_PAD src0_sel:DWORD src1_sel:WORD_1
	;; [unrolled: 1-line block ×3, first 2 shown]
	v_fmac_f16_e32 v52, v9, v38
	v_mul_f16_sdwa v9, v8, v47 dst_sel:DWORD dst_unused:UNUSED_PAD src0_sel:DWORD src1_sel:WORD_1
	v_fmac_f16_e32 v19, v17, v42
	v_fmac_f16_e32 v50, v18, v43
	v_mul_f16_sdwa v17, v15, v48 dst_sel:DWORD dst_unused:UNUSED_PAD src0_sel:DWORD src1_sel:WORD_1
	v_mul_f16_sdwa v18, v26, v40 dst_sel:DWORD dst_unused:UNUSED_PAD src0_sel:DWORD src1_sel:WORD_1
	v_fmac_f16_e32 v60, v8, v47
	v_fmac_f16_e32 v13, v7, v46
	v_mul_f16_sdwa v7, v32, v48 dst_sel:DWORD dst_unused:UNUSED_PAD src0_sel:DWORD src1_sel:WORD_1
	v_mul_f16_sdwa v8, v24, v45 dst_sel:DWORD dst_unused:UNUSED_PAD src0_sel:DWORD src1_sel:WORD_1
	v_fma_f16 v25, v25, v38, -v61
	v_mul_f16_sdwa v38, v12, v41 dst_sel:DWORD dst_unused:UNUSED_PAD src0_sel:DWORD src1_sel:WORD_1
	v_fma_f16 v20, v28, v44, -v20
	;; [unrolled: 2-line block ×6, first 2 shown]
	v_fma_f16 v9, v23, v47, -v9
	v_fma_f16 v23, v53, v46, -v63
	;; [unrolled: 1-line block ×3, first 2 shown]
	v_fmac_f16_e32 v8, v14, v45
	v_fma_f16 v14, v27, v41, -v38
	v_fma_f16 v27, v31, v49, -v28
	v_fmac_f16_e32 v18, v11, v40
	v_fmac_f16_e32 v7, v15, v48
	v_fma_f16 v11, v24, v45, -v39
	v_fmac_f16_e32 v43, v12, v41
	v_fmac_f16_e32 v26, v16, v49
	v_sub_f16_e32 v12, v25, v23
	v_sub_f16_e32 v15, v19, v55
	;; [unrolled: 1-line block ×18, first 2 shown]
	v_add_f16_e32 v37, v7, v23
	v_add_f16_e32 v38, v8, v24
	v_sub_f16_e32 v39, v9, v27
	v_add_f16_e32 v40, v28, v31
	v_add_f16_e32 v41, v13, v32
	v_sub_f16_e32 v42, v11, v26
	v_fma_f16 v25, v25, 2.0, -v12
	v_fma_f16 v29, v29, 2.0, -v32
	;; [unrolled: 1-line block ×16, first 2 shown]
	v_fmamk_f16 v27, v36, 0x39a8, v34
	v_fmamk_f16 v33, v40, 0x39a8, v38
	;; [unrolled: 1-line block ×4, first 2 shown]
	v_fma_f16 v12, v12, 2.0, -v34
	v_fma_f16 v16, v16, 2.0, -v36
	;; [unrolled: 1-line block ×8, first 2 shown]
	v_sub_f16_e32 v29, v25, v29
	v_sub_f16_e32 v17, v18, v17
	;; [unrolled: 1-line block ×8, first 2 shown]
	v_fmac_f16_e32 v27, 0xb9a8, v37
	v_fmac_f16_e32 v33, 0x39a8, v39
	;; [unrolled: 1-line block ×4, first 2 shown]
	v_fmamk_f16 v36, v16, 0xb9a8, v12
	v_fmamk_f16 v37, v28, 0xb9a8, v8
	;; [unrolled: 1-line block ×4, first 2 shown]
	v_sub_f16_e32 v44, v29, v17
	v_add_f16_e32 v45, v26, v30
	v_add_f16_e32 v46, v15, v19
	v_sub_f16_e32 v47, v14, v24
	v_fma_f16 v22, v22, 2.0, -v26
	v_fma_f16 v23, v23, 2.0, -v24
	;; [unrolled: 1-line block ×8, first 2 shown]
	v_fmac_f16_e32 v36, 0xb9a8, v7
	v_fmac_f16_e32 v37, 0x39a8, v9
	v_fmac_f16_e32 v39, 0x39a8, v16
	v_fmac_f16_e32 v40, 0xb9a8, v28
	v_fmamk_f16 v9, v27, 0x3b64, v43
	v_fmamk_f16 v16, v46, 0x39a8, v45
	v_fma_f16 v29, v29, 2.0, -v44
	v_fma_f16 v14, v14, 2.0, -v47
	v_sub_f16_e32 v23, v22, v23
	v_sub_f16_e32 v10, v24, v10
	v_fmamk_f16 v28, v44, 0x39a8, v47
	v_sub_f16_e32 v20, v19, v20
	v_sub_f16_e32 v17, v25, v17
	v_fma_f16 v18, v34, 2.0, -v27
	v_fma_f16 v30, v38, 2.0, -v33
	;; [unrolled: 1-line block ×4, first 2 shown]
	v_fmamk_f16 v7, v35, 0x3b64, v33
	v_fma_f16 v26, v26, 2.0, -v45
	v_fma_f16 v15, v15, 2.0, -v46
	v_fmac_f16_e32 v9, 0xb61f, v35
	v_fmac_f16_e32 v16, 0x39a8, v44
	v_fmamk_f16 v35, v29, 0xb9a8, v14
	v_add_f16_e32 v44, v23, v10
	v_fma_f16 v8, v8, 2.0, -v37
	v_fma_f16 v12, v12, 2.0, -v36
	;; [unrolled: 1-line block ×4, first 2 shown]
	v_fmac_f16_e32 v28, 0xb9a8, v46
	v_sub_f16_e32 v46, v20, v17
	v_fma_f16 v22, v22, 2.0, -v23
	v_fma_f16 v17, v25, 2.0, -v17
	v_fma_f16 v19, v19, 2.0, -v20
	v_fma_f16 v10, v24, 2.0, -v10
	v_fmamk_f16 v34, v31, 0xb61f, v30
	v_fmamk_f16 v38, v18, 0xb61f, v32
	v_fmac_f16_e32 v7, 0x361f, v27
	v_fmamk_f16 v27, v15, 0xb9a8, v26
	v_fmamk_f16 v41, v39, 0x361f, v37
	;; [unrolled: 1-line block ×3, first 2 shown]
	v_fmac_f16_e32 v35, 0xb9a8, v15
	v_fma_f16 v15, v23, 2.0, -v44
	v_fmamk_f16 v23, v13, 0xbb64, v8
	v_fmamk_f16 v25, v12, 0xbb64, v11
	v_sub_f16_e32 v17, v22, v17
	v_sub_f16_e32 v10, v19, v10
	v_fmac_f16_e32 v34, 0x3b64, v18
	v_fmac_f16_e32 v38, 0xbb64, v31
	;; [unrolled: 1-line block ×5, first 2 shown]
	v_fma_f16 v18, v33, 2.0, -v7
	v_fma_f16 v24, v43, 2.0, -v9
	v_fmac_f16_e32 v23, 0x361f, v12
	v_fmac_f16_e32 v25, 0xb61f, v13
	v_fma_f16 v20, v20, 2.0, -v46
	v_fma_f16 v12, v22, 2.0, -v17
	v_fma_f16 v13, v19, 2.0, -v10
	v_fma_f16 v30, v30, 2.0, -v34
	v_fma_f16 v32, v32, 2.0, -v38
	v_fma_f16 v26, v26, 2.0, -v27
	v_fma_f16 v14, v14, 2.0, -v35
	v_fma_f16 v29, v45, 2.0, -v16
	v_fma_f16 v31, v47, 2.0, -v28
	v_pack_b32_f16 v16, v16, v28
	v_pack_b32_f16 v7, v7, v9
	v_fma_f16 v9, v37, 2.0, -v41
	v_fma_f16 v28, v40, 2.0, -v42
	v_pack_b32_f16 v18, v18, v24
	v_pack_b32_f16 v10, v17, v10
	v_fma_f16 v8, v8, 2.0, -v23
	v_fma_f16 v11, v11, 2.0, -v25
	v_pack_b32_f16 v33, v44, v46
	v_pack_b32_f16 v15, v15, v20
	;; [unrolled: 1-line block ×10, first 2 shown]
	ds_write2_b32 v4, v18, v10 offset0:77 offset1:88
	v_pack_b32_f16 v10, v23, v25
	v_pack_b32_f16 v8, v8, v11
	ds_write2_b32 v4, v20, v33 offset0:121 offset1:132
	ds_write2_b32 v4, v22, v16 offset0:143 offset1:154
	ds_write_b32 v21, v12
	ds_write2_b32 v4, v14, v15 offset0:33 offset1:44
	ds_write2_b32 v4, v9, v19 offset0:55 offset1:66
	;; [unrolled: 1-line block ×4, first 2 shown]
	ds_write_b32 v4, v7 offset:660
.LBB0_25:
	s_or_b32 exec_lo, exec_lo, s1
	s_waitcnt lgkmcnt(0)
	s_barrier
	buffer_gl0_inv
	s_and_saveexec_b32 s0, vcc_lo
	s_cbranch_execz .LBB0_27
; %bb.26:
	v_mul_lo_u32 v7, s3, v5
	v_mul_lo_u32 v8, s2, v6
	v_mad_u64_u32 v[5:6], null, s2, v5, 0
	v_lshl_add_u32 v17, v3, 2, v0
	v_mov_b32_e32 v4, 0
	v_lshlrev_b64 v[0:1], 2, v[1:2]
	v_add_nc_u32_e32 v9, 32, v3
	ds_read2_b32 v[11:12], v17 offset1:16
	v_add3_u32 v6, v6, v8, v7
	v_add_nc_u32_e32 v7, 16, v3
	v_mov_b32_e32 v8, v4
	ds_read2_b32 v[15:16], v17 offset0:32 offset1:48
	v_lshlrev_b64 v[13:14], 2, v[3:4]
	v_lshlrev_b64 v[5:6], 2, v[5:6]
	v_mov_b32_e32 v10, v4
	v_add_co_u32 v2, vcc_lo, s10, v5
	v_add_co_ci_u32_e32 v18, vcc_lo, s11, v6, vcc_lo
	v_lshlrev_b64 v[5:6], 2, v[7:8]
	v_add_co_u32 v19, vcc_lo, v2, v0
	v_add_co_ci_u32_e32 v18, vcc_lo, v18, v1, vcc_lo
	v_lshlrev_b64 v[0:1], 2, v[9:10]
	v_add_co_u32 v7, vcc_lo, v19, v13
	v_add_co_ci_u32_e32 v8, vcc_lo, v18, v14, vcc_lo
	v_add_co_u32 v5, vcc_lo, v19, v5
	v_add_co_ci_u32_e32 v6, vcc_lo, v18, v6, vcc_lo
	;; [unrolled: 2-line block ×3, first 2 shown]
	s_waitcnt lgkmcnt(1)
	global_store_dword v[7:8], v11, off
	v_add_nc_u32_e32 v7, 48, v3
	v_mov_b32_e32 v8, v4
	v_add_nc_u32_e32 v9, 64, v3
	global_store_dword v[5:6], v12, off
	s_waitcnt lgkmcnt(0)
	global_store_dword v[0:1], v15, off
	ds_read2_b32 v[5:6], v17 offset0:64 offset1:80
	v_add_nc_u32_e32 v11, 0x60, v3
	v_lshlrev_b64 v[0:1], 2, v[7:8]
	v_lshlrev_b64 v[7:8], 2, v[9:10]
	v_add_nc_u32_e32 v9, 0x50, v3
	v_mov_b32_e32 v12, v4
	v_add_nc_u32_e32 v13, 0x90, v3
	v_mov_b32_e32 v14, v4
	v_add_co_u32 v0, vcc_lo, v19, v0
	v_lshlrev_b64 v[9:10], 2, v[9:10]
	v_add_co_ci_u32_e32 v1, vcc_lo, v18, v1, vcc_lo
	v_add_co_u32 v7, vcc_lo, v19, v7
	v_add_co_ci_u32_e32 v8, vcc_lo, v18, v8, vcc_lo
	v_add_co_u32 v9, vcc_lo, v19, v9
	v_add_co_ci_u32_e32 v10, vcc_lo, v18, v10, vcc_lo
	global_store_dword v[0:1], v16, off
	s_waitcnt lgkmcnt(0)
	global_store_dword v[7:8], v5, off
	global_store_dword v[9:10], v6, off
	v_add_nc_u32_e32 v7, 0x70, v3
	v_mov_b32_e32 v8, v4
	v_lshlrev_b64 v[5:6], 2, v[11:12]
	ds_read2_b32 v[0:1], v17 offset0:96 offset1:112
	v_add_nc_u32_e32 v9, 0x80, v3
	v_mov_b32_e32 v10, v4
	v_lshlrev_b64 v[7:8], 2, v[7:8]
	ds_read2_b32 v[11:12], v17 offset0:128 offset1:144
	ds_read_b32 v15, v17 offset:640
	v_add_co_u32 v5, vcc_lo, v19, v5
	v_lshlrev_b64 v[9:10], 2, v[9:10]
	v_add_nc_u32_e32 v3, 0xa0, v3
	v_add_co_ci_u32_e32 v6, vcc_lo, v18, v6, vcc_lo
	v_add_co_u32 v7, vcc_lo, v19, v7
	v_lshlrev_b64 v[13:14], 2, v[13:14]
	v_add_co_ci_u32_e32 v8, vcc_lo, v18, v8, vcc_lo
	v_add_co_u32 v9, vcc_lo, v19, v9
	v_lshlrev_b64 v[2:3], 2, v[3:4]
	v_add_co_ci_u32_e32 v10, vcc_lo, v18, v10, vcc_lo
	v_add_co_u32 v13, vcc_lo, v19, v13
	v_add_co_ci_u32_e32 v14, vcc_lo, v18, v14, vcc_lo
	v_add_co_u32 v2, vcc_lo, v19, v2
	v_add_co_ci_u32_e32 v3, vcc_lo, v18, v3, vcc_lo
	s_waitcnt lgkmcnt(2)
	global_store_dword v[5:6], v0, off
	global_store_dword v[7:8], v1, off
	s_waitcnt lgkmcnt(1)
	global_store_dword v[9:10], v11, off
	global_store_dword v[13:14], v12, off
	s_waitcnt lgkmcnt(0)
	global_store_dword v[2:3], v15, off
.LBB0_27:
	s_endpgm
	.section	.rodata,"a",@progbits
	.p2align	6, 0x0
	.amdhsa_kernel fft_rtc_back_len176_factors_11_16_wgs_64_tpt_16_halfLds_half_op_CI_CI_unitstride_sbrr_C2R_dirReg
		.amdhsa_group_segment_fixed_size 0
		.amdhsa_private_segment_fixed_size 0
		.amdhsa_kernarg_size 104
		.amdhsa_user_sgpr_count 6
		.amdhsa_user_sgpr_private_segment_buffer 1
		.amdhsa_user_sgpr_dispatch_ptr 0
		.amdhsa_user_sgpr_queue_ptr 0
		.amdhsa_user_sgpr_kernarg_segment_ptr 1
		.amdhsa_user_sgpr_dispatch_id 0
		.amdhsa_user_sgpr_flat_scratch_init 0
		.amdhsa_user_sgpr_private_segment_size 0
		.amdhsa_wavefront_size32 1
		.amdhsa_uses_dynamic_stack 0
		.amdhsa_system_sgpr_private_segment_wavefront_offset 0
		.amdhsa_system_sgpr_workgroup_id_x 1
		.amdhsa_system_sgpr_workgroup_id_y 0
		.amdhsa_system_sgpr_workgroup_id_z 0
		.amdhsa_system_sgpr_workgroup_info 0
		.amdhsa_system_vgpr_workitem_id 0
		.amdhsa_next_free_vgpr 64
		.amdhsa_next_free_sgpr 27
		.amdhsa_reserve_vcc 1
		.amdhsa_reserve_flat_scratch 0
		.amdhsa_float_round_mode_32 0
		.amdhsa_float_round_mode_16_64 0
		.amdhsa_float_denorm_mode_32 3
		.amdhsa_float_denorm_mode_16_64 3
		.amdhsa_dx10_clamp 1
		.amdhsa_ieee_mode 1
		.amdhsa_fp16_overflow 0
		.amdhsa_workgroup_processor_mode 1
		.amdhsa_memory_ordered 1
		.amdhsa_forward_progress 0
		.amdhsa_shared_vgpr_count 0
		.amdhsa_exception_fp_ieee_invalid_op 0
		.amdhsa_exception_fp_denorm_src 0
		.amdhsa_exception_fp_ieee_div_zero 0
		.amdhsa_exception_fp_ieee_overflow 0
		.amdhsa_exception_fp_ieee_underflow 0
		.amdhsa_exception_fp_ieee_inexact 0
		.amdhsa_exception_int_div_zero 0
	.end_amdhsa_kernel
	.text
.Lfunc_end0:
	.size	fft_rtc_back_len176_factors_11_16_wgs_64_tpt_16_halfLds_half_op_CI_CI_unitstride_sbrr_C2R_dirReg, .Lfunc_end0-fft_rtc_back_len176_factors_11_16_wgs_64_tpt_16_halfLds_half_op_CI_CI_unitstride_sbrr_C2R_dirReg
                                        ; -- End function
	.section	.AMDGPU.csdata,"",@progbits
; Kernel info:
; codeLenInByte = 7468
; NumSgprs: 29
; NumVgprs: 64
; ScratchSize: 0
; MemoryBound: 0
; FloatMode: 240
; IeeeMode: 1
; LDSByteSize: 0 bytes/workgroup (compile time only)
; SGPRBlocks: 3
; VGPRBlocks: 7
; NumSGPRsForWavesPerEU: 29
; NumVGPRsForWavesPerEU: 64
; Occupancy: 16
; WaveLimiterHint : 1
; COMPUTE_PGM_RSRC2:SCRATCH_EN: 0
; COMPUTE_PGM_RSRC2:USER_SGPR: 6
; COMPUTE_PGM_RSRC2:TRAP_HANDLER: 0
; COMPUTE_PGM_RSRC2:TGID_X_EN: 1
; COMPUTE_PGM_RSRC2:TGID_Y_EN: 0
; COMPUTE_PGM_RSRC2:TGID_Z_EN: 0
; COMPUTE_PGM_RSRC2:TIDIG_COMP_CNT: 0
	.text
	.p2alignl 6, 3214868480
	.fill 48, 4, 3214868480
	.type	__hip_cuid_d01a89c89ec539e1,@object ; @__hip_cuid_d01a89c89ec539e1
	.section	.bss,"aw",@nobits
	.globl	__hip_cuid_d01a89c89ec539e1
__hip_cuid_d01a89c89ec539e1:
	.byte	0                               ; 0x0
	.size	__hip_cuid_d01a89c89ec539e1, 1

	.ident	"AMD clang version 19.0.0git (https://github.com/RadeonOpenCompute/llvm-project roc-6.4.0 25133 c7fe45cf4b819c5991fe208aaa96edf142730f1d)"
	.section	".note.GNU-stack","",@progbits
	.addrsig
	.addrsig_sym __hip_cuid_d01a89c89ec539e1
	.amdgpu_metadata
---
amdhsa.kernels:
  - .args:
      - .actual_access:  read_only
        .address_space:  global
        .offset:         0
        .size:           8
        .value_kind:     global_buffer
      - .offset:         8
        .size:           8
        .value_kind:     by_value
      - .actual_access:  read_only
        .address_space:  global
        .offset:         16
        .size:           8
        .value_kind:     global_buffer
      - .actual_access:  read_only
        .address_space:  global
        .offset:         24
        .size:           8
        .value_kind:     global_buffer
      - .actual_access:  read_only
        .address_space:  global
        .offset:         32
        .size:           8
        .value_kind:     global_buffer
      - .offset:         40
        .size:           8
        .value_kind:     by_value
      - .actual_access:  read_only
        .address_space:  global
        .offset:         48
        .size:           8
        .value_kind:     global_buffer
      - .actual_access:  read_only
        .address_space:  global
        .offset:         56
        .size:           8
        .value_kind:     global_buffer
      - .offset:         64
        .size:           4
        .value_kind:     by_value
      - .actual_access:  read_only
        .address_space:  global
        .offset:         72
        .size:           8
        .value_kind:     global_buffer
      - .actual_access:  read_only
        .address_space:  global
        .offset:         80
        .size:           8
        .value_kind:     global_buffer
      - .actual_access:  read_only
        .address_space:  global
        .offset:         88
        .size:           8
        .value_kind:     global_buffer
      - .actual_access:  write_only
        .address_space:  global
        .offset:         96
        .size:           8
        .value_kind:     global_buffer
    .group_segment_fixed_size: 0
    .kernarg_segment_align: 8
    .kernarg_segment_size: 104
    .language:       OpenCL C
    .language_version:
      - 2
      - 0
    .max_flat_workgroup_size: 64
    .name:           fft_rtc_back_len176_factors_11_16_wgs_64_tpt_16_halfLds_half_op_CI_CI_unitstride_sbrr_C2R_dirReg
    .private_segment_fixed_size: 0
    .sgpr_count:     29
    .sgpr_spill_count: 0
    .symbol:         fft_rtc_back_len176_factors_11_16_wgs_64_tpt_16_halfLds_half_op_CI_CI_unitstride_sbrr_C2R_dirReg.kd
    .uniform_work_group_size: 1
    .uses_dynamic_stack: false
    .vgpr_count:     64
    .vgpr_spill_count: 0
    .wavefront_size: 32
    .workgroup_processor_mode: 1
amdhsa.target:   amdgcn-amd-amdhsa--gfx1030
amdhsa.version:
  - 1
  - 2
...

	.end_amdgpu_metadata
